;; amdgpu-corpus repo=ROCm/rocm-libraries kind=compiled arch=gfx950 opt=O3
	.amdgcn_target "amdgcn-amd-amdhsa--gfx950"
	.amdhsa_code_object_version 6
	.section	.text._ZN2ckL12flush_icacheEv,"axG",@progbits,_ZN2ckL12flush_icacheEv,comdat
	.globl	_ZN2ckL12flush_icacheEv         ; -- Begin function _ZN2ckL12flush_icacheEv
	.p2align	8
	.type	_ZN2ckL12flush_icacheEv,@function
_ZN2ckL12flush_icacheEv:                ; @_ZN2ckL12flush_icacheEv
; %bb.0:
	;;#ASMSTART
	s_icache_inv 
	s_nop 0 
	s_nop 0 
	;; [unrolled: 1-line block ×16, first 2 shown]
	
	;;#ASMEND
	s_endpgm
	.section	.rodata,"a",@progbits
	.p2align	6, 0x0
	.amdhsa_kernel _ZN2ckL12flush_icacheEv
		.amdhsa_group_segment_fixed_size 0
		.amdhsa_private_segment_fixed_size 0
		.amdhsa_kernarg_size 0
		.amdhsa_user_sgpr_count 0
		.amdhsa_user_sgpr_dispatch_ptr 0
		.amdhsa_user_sgpr_queue_ptr 0
		.amdhsa_user_sgpr_kernarg_segment_ptr 0
		.amdhsa_user_sgpr_dispatch_id 0
		.amdhsa_user_sgpr_kernarg_preload_length 0
		.amdhsa_user_sgpr_kernarg_preload_offset 0
		.amdhsa_user_sgpr_private_segment_size 0
		.amdhsa_uses_dynamic_stack 0
		.amdhsa_enable_private_segment 0
		.amdhsa_system_sgpr_workgroup_id_x 1
		.amdhsa_system_sgpr_workgroup_id_y 0
		.amdhsa_system_sgpr_workgroup_id_z 0
		.amdhsa_system_sgpr_workgroup_info 0
		.amdhsa_system_vgpr_workitem_id 0
		.amdhsa_next_free_vgpr 1
		.amdhsa_next_free_sgpr 0
		.amdhsa_accum_offset 4
		.amdhsa_reserve_vcc 0
		.amdhsa_float_round_mode_32 0
		.amdhsa_float_round_mode_16_64 0
		.amdhsa_float_denorm_mode_32 3
		.amdhsa_float_denorm_mode_16_64 3
		.amdhsa_dx10_clamp 1
		.amdhsa_ieee_mode 1
		.amdhsa_fp16_overflow 0
		.amdhsa_tg_split 0
		.amdhsa_exception_fp_ieee_invalid_op 0
		.amdhsa_exception_fp_denorm_src 0
		.amdhsa_exception_fp_ieee_div_zero 0
		.amdhsa_exception_fp_ieee_overflow 0
		.amdhsa_exception_fp_ieee_underflow 0
		.amdhsa_exception_fp_ieee_inexact 0
		.amdhsa_exception_int_div_zero 0
	.end_amdhsa_kernel
	.section	.text._ZN2ckL12flush_icacheEv,"axG",@progbits,_ZN2ckL12flush_icacheEv,comdat
.Lfunc_end0:
	.size	_ZN2ckL12flush_icacheEv, .Lfunc_end0-_ZN2ckL12flush_icacheEv
                                        ; -- End function
	.set _ZN2ckL12flush_icacheEv.num_vgpr, 0
	.set _ZN2ckL12flush_icacheEv.num_agpr, 0
	.set _ZN2ckL12flush_icacheEv.numbered_sgpr, 0
	.set _ZN2ckL12flush_icacheEv.num_named_barrier, 0
	.set _ZN2ckL12flush_icacheEv.private_seg_size, 0
	.set _ZN2ckL12flush_icacheEv.uses_vcc, 0
	.set _ZN2ckL12flush_icacheEv.uses_flat_scratch, 0
	.set _ZN2ckL12flush_icacheEv.has_dyn_sized_stack, 0
	.set _ZN2ckL12flush_icacheEv.has_recursion, 0
	.set _ZN2ckL12flush_icacheEv.has_indirect_call, 0
	.section	.AMDGPU.csdata,"",@progbits
; Kernel info:
; codeLenInByte = 276
; TotalNumSgprs: 6
; NumVgprs: 0
; NumAgprs: 0
; TotalNumVgprs: 0
; ScratchSize: 0
; MemoryBound: 0
; FloatMode: 240
; IeeeMode: 1
; LDSByteSize: 0 bytes/workgroup (compile time only)
; SGPRBlocks: 0
; VGPRBlocks: 0
; NumSGPRsForWavesPerEU: 6
; NumVGPRsForWavesPerEU: 1
; AccumOffset: 4
; Occupancy: 8
; WaveLimiterHint : 0
; COMPUTE_PGM_RSRC2:SCRATCH_EN: 0
; COMPUTE_PGM_RSRC2:USER_SGPR: 0
; COMPUTE_PGM_RSRC2:TRAP_HANDLER: 0
; COMPUTE_PGM_RSRC2:TGID_X_EN: 1
; COMPUTE_PGM_RSRC2:TGID_Y_EN: 0
; COMPUTE_PGM_RSRC2:TGID_Z_EN: 0
; COMPUTE_PGM_RSRC2:TIDIG_COMP_CNT: 0
; COMPUTE_PGM_RSRC3_GFX90A:ACCUM_OFFSET: 0
; COMPUTE_PGM_RSRC3_GFX90A:TG_SPLIT: 0
	.section	.text._Z10DeviceGemmIDF16_N2ck7wrapper48BlockwisGemmXdlTraits_32x32Xdl_4x2XdlPerWave_8K1ELi8ENS0_5TupleIJNS0_17integral_constantIiLi256EEENS4_IiLi128EEENS4_IiLi32EEEEEENS1_6LayoutINS3_IJNS4_IiLi4EEENS4_IiLi64EEENS4_IiLi1EEEEEENS0_16TensorDescriptorINS3_IJNS0_5EmbedISD_NS3_IJSC_SA_SC_EEELb0EEEEEENS3_IJNS0_8SequenceIJLi0EEEEEEENS3_IJNSJ_IJLi1ELi2ELi3EEEEEEESM_NS4_IlLl256EEEEEEELb0EEvPKvSS_PviiiT2_T3_,"axG",@progbits,_Z10DeviceGemmIDF16_N2ck7wrapper48BlockwisGemmXdlTraits_32x32Xdl_4x2XdlPerWave_8K1ELi8ENS0_5TupleIJNS0_17integral_constantIiLi256EEENS4_IiLi128EEENS4_IiLi32EEEEEENS1_6LayoutINS3_IJNS4_IiLi4EEENS4_IiLi64EEENS4_IiLi1EEEEEENS0_16TensorDescriptorINS3_IJNS0_5EmbedISD_NS3_IJSC_SA_SC_EEELb0EEEEEENS3_IJNS0_8SequenceIJLi0EEEEEEENS3_IJNSJ_IJLi1ELi2ELi3EEEEEEESM_NS4_IlLl256EEEEEEELb0EEvPKvSS_PviiiT2_T3_,comdat
	.protected	_Z10DeviceGemmIDF16_N2ck7wrapper48BlockwisGemmXdlTraits_32x32Xdl_4x2XdlPerWave_8K1ELi8ENS0_5TupleIJNS0_17integral_constantIiLi256EEENS4_IiLi128EEENS4_IiLi32EEEEEENS1_6LayoutINS3_IJNS4_IiLi4EEENS4_IiLi64EEENS4_IiLi1EEEEEENS0_16TensorDescriptorINS3_IJNS0_5EmbedISD_NS3_IJSC_SA_SC_EEELb0EEEEEENS3_IJNS0_8SequenceIJLi0EEEEEEENS3_IJNSJ_IJLi1ELi2ELi3EEEEEEESM_NS4_IlLl256EEEEEEELb0EEvPKvSS_PviiiT2_T3_ ; -- Begin function _Z10DeviceGemmIDF16_N2ck7wrapper48BlockwisGemmXdlTraits_32x32Xdl_4x2XdlPerWave_8K1ELi8ENS0_5TupleIJNS0_17integral_constantIiLi256EEENS4_IiLi128EEENS4_IiLi32EEEEEENS1_6LayoutINS3_IJNS4_IiLi4EEENS4_IiLi64EEENS4_IiLi1EEEEEENS0_16TensorDescriptorINS3_IJNS0_5EmbedISD_NS3_IJSC_SA_SC_EEELb0EEEEEENS3_IJNS0_8SequenceIJLi0EEEEEEENS3_IJNSJ_IJLi1ELi2ELi3EEEEEEESM_NS4_IlLl256EEEEEEELb0EEvPKvSS_PviiiT2_T3_
	.globl	_Z10DeviceGemmIDF16_N2ck7wrapper48BlockwisGemmXdlTraits_32x32Xdl_4x2XdlPerWave_8K1ELi8ENS0_5TupleIJNS0_17integral_constantIiLi256EEENS4_IiLi128EEENS4_IiLi32EEEEEENS1_6LayoutINS3_IJNS4_IiLi4EEENS4_IiLi64EEENS4_IiLi1EEEEEENS0_16TensorDescriptorINS3_IJNS0_5EmbedISD_NS3_IJSC_SA_SC_EEELb0EEEEEENS3_IJNS0_8SequenceIJLi0EEEEEEENS3_IJNSJ_IJLi1ELi2ELi3EEEEEEESM_NS4_IlLl256EEEEEEELb0EEvPKvSS_PviiiT2_T3_
	.p2align	8
	.type	_Z10DeviceGemmIDF16_N2ck7wrapper48BlockwisGemmXdlTraits_32x32Xdl_4x2XdlPerWave_8K1ELi8ENS0_5TupleIJNS0_17integral_constantIiLi256EEENS4_IiLi128EEENS4_IiLi32EEEEEENS1_6LayoutINS3_IJNS4_IiLi4EEENS4_IiLi64EEENS4_IiLi1EEEEEENS0_16TensorDescriptorINS3_IJNS0_5EmbedISD_NS3_IJSC_SA_SC_EEELb0EEEEEENS3_IJNS0_8SequenceIJLi0EEEEEEENS3_IJNSJ_IJLi1ELi2ELi3EEEEEEESM_NS4_IlLl256EEEEEEELb0EEvPKvSS_PviiiT2_T3_,@function
_Z10DeviceGemmIDF16_N2ck7wrapper48BlockwisGemmXdlTraits_32x32Xdl_4x2XdlPerWave_8K1ELi8ENS0_5TupleIJNS0_17integral_constantIiLi256EEENS4_IiLi128EEENS4_IiLi32EEEEEENS1_6LayoutINS3_IJNS4_IiLi4EEENS4_IiLi64EEENS4_IiLi1EEEEEENS0_16TensorDescriptorINS3_IJNS0_5EmbedISD_NS3_IJSC_SA_SC_EEELb0EEEEEENS3_IJNS0_8SequenceIJLi0EEEEEEENS3_IJNSJ_IJLi1ELi2ELi3EEEEEEESM_NS4_IlLl256EEEEEEELb0EEvPKvSS_PviiiT2_T3_: ; @_Z10DeviceGemmIDF16_N2ck7wrapper48BlockwisGemmXdlTraits_32x32Xdl_4x2XdlPerWave_8K1ELi8ENS0_5TupleIJNS0_17integral_constantIiLi256EEENS4_IiLi128EEENS4_IiLi32EEEEEENS1_6LayoutINS3_IJNS4_IiLi4EEENS4_IiLi64EEENS4_IiLi1EEEEEENS0_16TensorDescriptorINS3_IJNS0_5EmbedISD_NS3_IJSC_SA_SC_EEELb0EEEEEENS3_IJNS0_8SequenceIJLi0EEEEEEENS3_IJNSJ_IJLi1ELi2ELi3EEEEEEESM_NS4_IlLl256EEEEEEELb0EEvPKvSS_PviiiT2_T3_
; %bb.0:
	s_load_dwordx4 s[4:7], s[0:1], 0x18
	v_and_b32_e32 v140, 3, v0
	v_and_b32_e32 v138, 0xfc, v0
	v_lshlrev_b32_e32 v10, 3, v140
	v_and_b32_e32 v136, 31, v0
	s_waitcnt lgkmcnt(0)
	s_add_i32 s10, s5, 0x7f
	s_ashr_i32 s11, s10, 31
	s_add_i32 s7, s4, -1
	s_lshr_b32 s11, s11, 25
	s_addk_i32 s4, 0xff
	s_add_i32 s10, s10, s11
	s_ashr_i32 s11, s4, 31
	s_lshr_b32 s11, s11, 24
	s_add_i32 s4, s4, s11
	s_ashr_i32 s10, s10, 7
	s_ashr_i32 s11, s4, 8
	s_mul_i32 s4, s10, s11
	s_abs_i32 s12, s4
	v_cvt_f32_u32_e32 v1, s12
	s_add_i32 s8, s6, -1
	s_mul_i32 s9, s7, s6
	s_add_i32 s8, s8, 1
	v_rcp_iflag_f32_e32 v1, v1
	s_add_i32 s4, s5, -1
	s_add_i32 s13, s8, s9
	s_mul_i32 s9, s4, s6
	v_mul_f32_e32 v1, 0x4f7ffffe, v1
	v_cvt_u32_f32_e32 v1, v1
	s_add_i32 s14, s8, s9
	s_sub_i32 s8, 0, s12
	s_mul_i32 s2, s10, s2
	v_readfirstlane_b32 s9, v1
	s_mul_i32 s8, s8, s9
	s_add_i32 s2, s2, s3
	s_mul_hi_u32 s8, s9, s8
	s_ashr_i32 s3, s2, 31
	s_abs_i32 s2, s2
	s_add_i32 s9, s9, s8
	s_mul_hi_u32 s8, s2, s9
	s_mul_i32 s8, s8, s12
	s_sub_i32 s2, s2, s8
	s_sub_i32 s8, s2, s12
	s_cmp_ge_u32 s2, s12
	s_cselect_b32 s2, s8, s2
	s_sub_i32 s8, s2, s12
	s_cmp_ge_u32 s2, s12
	s_cselect_b32 s2, s8, s2
	s_abs_i32 s12, s10
	v_cvt_f32_u32_e32 v1, s12
	s_load_dwordx4 s[16:19], s[0:1], 0x0
	s_load_dwordx2 s[8:9], s[0:1], 0x10
	s_xor_b32 s0, s2, s3
	s_sub_i32 s0, s0, s3
	v_rcp_iflag_f32_e32 v1, v1
	s_sub_i32 s3, 0, s12
	s_abs_i32 s2, s0
	s_xor_b32 s1, s0, s10
	v_mul_f32_e32 v1, 0x4f7ffffe, v1
	v_cvt_u32_f32_e32 v1, v1
	s_ashr_i32 s1, s1, 31
	v_lshrrev_b32_e32 v137, 2, v0
	v_lshrrev_b32_e32 v143, 4, v0
	v_readfirstlane_b32 s15, v1
	s_mul_i32 s3, s3, s15
	s_mul_hi_u32 s3, s15, s3
	s_add_i32 s15, s15, s3
	s_mul_hi_u32 s3, s2, s15
	s_mul_i32 s15, s3, s12
	s_sub_i32 s2, s2, s15
	s_add_i32 s15, s3, 1
	s_sub_i32 s20, s2, s12
	s_cmp_ge_u32 s2, s12
	s_cselect_b32 s3, s15, s3
	s_cselect_b32 s2, s20, s2
	s_add_i32 s15, s3, 1
	s_cmp_ge_u32 s2, s12
	s_cselect_b32 s2, s15, s3
	s_xor_b32 s2, s2, s1
	s_sub_i32 s1, s2, s1
	s_lshr_b32 s2, s11, 29
	s_add_i32 s2, s11, s2
	s_and_b32 s2, s2, -8
	s_sub_i32 s3, s11, s2
	s_cmp_ge_i32 s1, s2
	s_cselect_b32 s2, s3, 8
	s_abs_i32 s11, s2
	v_cvt_f32_u32_e32 v1, s11
	s_mul_i32 s3, s1, s10
	s_sub_i32 s0, s0, s3
	s_ashr_i32 s3, s1, 31
	v_rcp_iflag_f32_e32 v1, v1
	s_lshr_b32 s3, s3, 29
	s_add_i32 s3, s1, s3
	s_and_b32 s3, s3, -8
	v_mul_f32_e32 v1, 0x4f7ffffe, v1
	v_cvt_u32_f32_e32 v1, v1
	s_sub_i32 s1, s1, s3
	s_sub_i32 s12, 0, s11
	s_mul_i32 s1, s1, s10
	v_readfirstlane_b32 s15, v1
	s_mul_i32 s12, s12, s15
	s_add_i32 s1, s1, s0
	s_mul_hi_u32 s12, s15, s12
	s_abs_i32 s10, s1
	s_add_i32 s15, s15, s12
	s_mul_hi_u32 s12, s10, s15
	s_mul_i32 s15, s12, s11
	s_xor_b32 s0, s1, s2
	s_sub_i32 s10, s10, s15
	s_ashr_i32 s0, s0, 31
	s_add_i32 s15, s12, 1
	s_sub_i32 s20, s10, s11
	s_cmp_ge_u32 s10, s11
	s_cselect_b32 s12, s15, s12
	s_cselect_b32 s10, s20, s10
	s_add_i32 s15, s12, 1
	s_cmp_ge_u32 s10, s11
	s_cselect_b32 s10, s15, s12
	s_xor_b32 s10, s10, s0
	s_sub_i32 s0, s10, s0
	s_mul_i32 s2, s0, s2
	s_sub_i32 s1, s1, s2
	s_add_i32 s3, s3, s1
	s_lshl_b32 s24, s3, 8
	v_lshrrev_b32_e32 v1, 1, v0
	v_or_b32_e32 v134, s24, v138
	v_and_b32_e32 v139, 0x7e, v1
	s_lshl_b32 s25, s0, 7
	v_mad_u64_u32 v[2:3], s[0:1], v134, s6, v[10:11]
	v_or_b32_e32 v135, s25, v139
	s_lshl_b32 s2, s13, 1
	s_mov_b32 s3, 0x20000
	s_waitcnt lgkmcnt(0)
	s_and_b32 s1, s17, 0xffff
	s_mov_b32 s0, s16
	v_lshlrev_b32_e32 v11, 1, v2
	v_add_u32_e32 v12, s6, v2
	v_lshlrev_b32_e32 v13, 1, v12
	buffer_load_dwordx4 v[2:5], v11, s[0:3], 0 offen
	buffer_load_dwordx4 v[6:9], v13, s[0:3], 0 offen
	v_add_u32_e32 v18, s6, v12
	v_mad_u64_u32 v[10:11], s[10:11], v135, s6, v[10:11]
	s_lshl_b32 s14, s14, 1
	s_and_b32 s13, s19, 0xffff
	s_mov_b32 s12, s18
	s_mov_b32 s15, s3
	v_lshlrev_b32_e32 v19, 1, v10
	v_add_lshl_u32 v20, v10, s6, 1
	v_lshlrev_b32_e32 v26, 1, v18
	buffer_load_dwordx4 v[10:13], v19, s[12:15], 0 offen
	buffer_load_dwordx4 v[14:17], v20, s[12:15], 0 offen
	v_add_lshl_u32 v27, v18, s6, 1
	buffer_load_dwordx4 v[18:21], v26, s[0:3], 0 offen
	buffer_load_dwordx4 v[22:25], v27, s[0:3], 0 offen
	v_mov_b32_e32 v26, 0x4010
	s_movk_i32 s10, 0x810
	v_lshl_or_b32 v142, v1, 4, v26
	s_movk_i32 s0, 0x1010
	v_lshlrev_b32_e32 v141, 4, v138
	v_mad_u32_u24 v27, v140, s10, v142
	s_cmp_gt_i32 s6, 32
	v_and_or_b32 v133, v1, 32, v136
	v_mad_u32_u24 v26, v140, s0, v141
	s_waitcnt vmcnt(3)
	ds_write_b128 v27, v[10:13]
	s_waitcnt vmcnt(2)
	ds_write_b128 v27, v[14:17] offset:16
	ds_write_b128 v26, v[2:5]
	ds_write_b128 v26, v[6:9] offset:16
	s_waitcnt vmcnt(1)
	ds_write_b128 v26, v[18:21] offset:32
	s_waitcnt vmcnt(0)
	ds_write_b128 v26, v[22:25] offset:48
	s_cbranch_scc1 .LBB1_2
; %bb.1:
	v_and_b32_e32 v3, 2, v143
	v_and_or_b32 v2, v137, 32, v136
	v_mul_u32_u24_e32 v4, 0x808, v3
	v_lshl_add_u32 v131, v2, 3, v4
	v_and_or_b32 v130, v1, 32, v136
	v_mul_u32_u24_e32 v2, 0x408, v3
	v_lshl_add_u32 v132, v130, 3, v2
	s_mov_b64 s[22:23], 0
	s_branch .LBB1_3
.LBB1_2:
	s_mov_b64 s[22:23], -1
                                        ; implicit-def: $vgpr130
                                        ; implicit-def: $vgpr131
                                        ; implicit-def: $vgpr132
.LBB1_3:
	s_getpc_b64 s[10:11]
	s_add_u32 s10, s10, _ZN2ck51BlockwiseGemmXdlops_k0mk1_k0nk1_m0n0m1n1m2m3m4n2_v1ILi256EDF16_DF16_fNS_16TensorDescriptorINS_5TupleIJNS_5EmbedINS2_IJNS_17integral_constantIiLi4EEENS4_IiLi256EEENS4_IiLi8EEEEEENS2_IJNS4_IiLi2056EEES7_NS4_IiLi1EEEEEELb0EEEEEENS2_IJNS_8SequenceIJLi0EEEEEEENS2_IJNSE_IJLi1ELi2ELi3EEEEEEESH_NS4_IlLl8216EEEEENS1_INS2_IJNS3_INS2_IJS5_NS4_IiLi128EEES7_EEENS2_IJNS4_IiLi1032EEES7_SA_EEELb0EEEEEESG_SI_SH_NS4_IlLl4120EEEEELi32ELi32ELi4ELi2ELi8EDF16_DF16_E6MWavesE@rel32@lo+4
	s_addc_u32 s11, s11, _ZN2ck51BlockwiseGemmXdlops_k0mk1_k0nk1_m0n0m1n1m2m3m4n2_v1ILi256EDF16_DF16_fNS_16TensorDescriptorINS_5TupleIJNS_5EmbedINS2_IJNS_17integral_constantIiLi4EEENS4_IiLi256EEENS4_IiLi8EEEEEENS2_IJNS4_IiLi2056EEES7_NS4_IiLi1EEEEEELb0EEEEEENS2_IJNS_8SequenceIJLi0EEEEEEENS2_IJNSE_IJLi1ELi2ELi3EEEEEEESH_NS4_IlLl8216EEEEENS1_INS2_IJNS3_INS2_IJS5_NS4_IiLi128EEES7_EEENS2_IJNS4_IiLi1032EEES7_SA_EEELb0EEEEEESG_SI_SH_NS4_IlLl4120EEEEELi32ELi32ELi4ELi2ELi8EDF16_DF16_E6MWavesE@rel32@hi+12
	s_getpc_b64 s[20:21]
	s_add_u32 s20, s20, _ZN2ck51BlockwiseGemmXdlops_k0mk1_k0nk1_m0n0m1n1m2m3m4n2_v1ILi256EDF16_DF16_fNS_16TensorDescriptorINS_5TupleIJNS_5EmbedINS2_IJNS_17integral_constantIiLi4EEENS4_IiLi256EEENS4_IiLi8EEEEEENS2_IJNS4_IiLi2056EEES7_NS4_IiLi1EEEEEELb0EEEEEENS2_IJNS_8SequenceIJLi0EEEEEEENS2_IJNSE_IJLi1ELi2ELi3EEEEEEESH_NS4_IlLl8216EEEEENS1_INS2_IJNS3_INS2_IJS5_NS4_IiLi128EEES7_EEENS2_IJNS4_IiLi1032EEES7_SA_EEELb0EEEEEESG_SI_SH_NS4_IlLl4120EEEEELi32ELi32ELi4ELi2ELi8EDF16_DF16_E6NWavesE@rel32@lo+4
	s_addc_u32 s21, s21, _ZN2ck51BlockwiseGemmXdlops_k0mk1_k0nk1_m0n0m1n1m2m3m4n2_v1ILi256EDF16_DF16_fNS_16TensorDescriptorINS_5TupleIJNS_5EmbedINS2_IJNS_17integral_constantIiLi4EEENS4_IiLi256EEENS4_IiLi8EEEEEENS2_IJNS4_IiLi2056EEES7_NS4_IiLi1EEEEEELb0EEEEEENS2_IJNS_8SequenceIJLi0EEEEEEENS2_IJNSE_IJLi1ELi2ELi3EEEEEEESH_NS4_IlLl8216EEEEENS1_INS2_IJNS3_INS2_IJS5_NS4_IiLi128EEES7_EEENS2_IJNS4_IiLi1032EEES7_SA_EEELb0EEEEEESG_SI_SH_NS4_IlLl4120EEEEELi32ELi32ELi4ELi2ELi8EDF16_DF16_E6NWavesE@rel32@hi+12
	v_mov_b32_e32 v33, 0
	s_andn2_b64 vcc, exec, s[22:23]
	v_mov_b32_e32 v32, v33
	v_mov_b32_e32 v31, v33
	;; [unrolled: 1-line block ×127, first 2 shown]
	s_cbranch_vccnz .LBB1_7
; %bb.4:
	v_and_b32_e32 v5, 2, v143
	v_and_or_b32 v4, v137, 32, v136
	v_mul_u32_u24_e32 v6, 0x808, v5
	v_lshl_add_u32 v131, v4, 3, v6
	v_mul_u32_u24_e32 v4, 0x408, v5
	s_add_i32 s0, s6, 31
	v_lshl_add_u32 v132, v133, 3, v4
	v_mov_b32_e32 v4, 0x4010
	v_mul_u32_u24_e32 v2, 0x1010, v140
	v_mul_u32_u24_e32 v3, 0x810, v140
	s_lshr_b32 s0, s0, 5
	v_lshl_add_u32 v137, v132, 1, v4
	v_add_u32_e32 v4, 3, v138
	v_add_u32_e32 v5, 2, v138
	;; [unrolled: 1-line block ×4, first 2 shown]
	v_mov_b32_e32 v114, 0
	v_lshlrev_b32_e32 v136, 1, v131
	s_add_i32 s17, s0, -1
	s_lshl_b32 s6, s6, 1
	v_lshl_or_b32 v130, v140, 4, 64
	s_mov_b32 s0, s16
	s_mov_b32 s12, s18
	;; [unrolled: 1-line block ×3, first 2 shown]
	v_add_u32_e32 v138, v141, v2
	v_add_u32_e32 v139, v142, v3
	;; [unrolled: 1-line block ×6, first 2 shown]
	v_mov_b32_e32 v115, v114
	v_mov_b32_e32 v116, v114
	;; [unrolled: 1-line block ×127, first 2 shown]
.LBB1_5:                                ; =>This Inner Loop Header: Depth=1
	v_mad_u64_u32 v[144:145], s[18:19], s6, v134, v[130:131]
	v_mad_u64_u32 v[148:149], s[18:19], s6, v140, v[130:131]
	;; [unrolled: 1-line block ×4, first 2 shown]
	buffer_load_dwordx4 v[144:147], v144, s[0:3], 0 offen
	s_nop 0
	buffer_load_dwordx4 v[148:151], v148, s[0:3], 0 offen
	s_nop 0
	;; [unrolled: 2-line block ×3, first 2 shown]
	buffer_load_dwordx4 v[156:159], v156, s[0:3], 0 offen
	s_waitcnt lgkmcnt(0)
	s_barrier
	ds_read_b128 v[160:163], v136
	ds_read_b128 v[164:167], v137
	ds_read_b128 v[168:171], v137 offset:1024
	ds_read_b128 v[172:175], v136 offset:1024
	s_waitcnt lgkmcnt(2)
	v_mfma_f32_32x32x16_f16 v[114:129], v[160:163], v[164:167], v[114:129]
	v_mad_u64_u32 v[176:177], s[18:19], s6, v143, v[130:131]
	s_add_i32 s17, s17, -1
	s_cmp_lg_u32 s17, 0
	s_waitcnt lgkmcnt(1)
	v_mfma_f32_32x32x16_f16 v[98:113], v[160:163], v[168:171], v[98:113]
	s_waitcnt lgkmcnt(0)
	v_mfma_f32_32x32x16_f16 v[66:81], v[172:175], v[164:167], v[66:81]
	v_mfma_f32_32x32x16_f16 v[82:97], v[172:175], v[168:171], v[82:97]
	ds_read_b128 v[160:163], v136 offset:2048
	ds_read_b128 v[172:175], v136 offset:3072
	s_waitcnt lgkmcnt(1)
	v_mfma_f32_32x32x16_f16 v[50:65], v[160:163], v[164:167], v[50:65]
	v_mfma_f32_32x32x16_f16 v[34:49], v[160:163], v[168:171], v[34:49]
	s_waitcnt lgkmcnt(0)
	v_mfma_f32_32x32x16_f16 v[2:17], v[172:175], v[164:167], v[2:17]
	v_mfma_f32_32x32x16_f16 v[18:33], v[172:175], v[168:171], v[18:33]
	ds_read_b128 v[160:163], v136 offset:4112
	ds_read_b128 v[164:167], v137 offset:2064
	;; [unrolled: 1-line block ×4, first 2 shown]
	s_waitcnt lgkmcnt(2)
	v_mfma_f32_32x32x16_f16 v[114:129], v[160:163], v[164:167], v[114:129]
	s_waitcnt lgkmcnt(1)
	v_mfma_f32_32x32x16_f16 v[98:113], v[160:163], v[168:171], v[98:113]
	;; [unrolled: 2-line block ×3, first 2 shown]
	v_mfma_f32_32x32x16_f16 v[82:97], v[172:175], v[168:171], v[82:97]
	ds_read_b128 v[160:163], v136 offset:6160
	ds_read_b128 v[172:175], v136 offset:7184
	s_waitcnt lgkmcnt(1)
	v_mfma_f32_32x32x16_f16 v[50:65], v[160:163], v[164:167], v[50:65]
	v_mfma_f32_32x32x16_f16 v[34:49], v[160:163], v[168:171], v[34:49]
	v_mad_u64_u32 v[160:161], s[18:19], s6, v135, v[130:131]
	buffer_load_dwordx4 v[160:163], v160, s[12:15], 0 offen
	v_add_u32_e32 v130, 64, v130
	s_waitcnt lgkmcnt(0)
	v_mfma_f32_32x32x16_f16 v[2:17], v[172:175], v[164:167], v[2:17]
	buffer_load_dwordx4 v[164:167], v176, s[12:15], 0 offen
	s_waitcnt lgkmcnt(0)
	s_barrier
	s_waitcnt vmcnt(5)
	ds_write_b128 v138, v[144:147]
	s_waitcnt vmcnt(4)
	ds_write_b128 v138, v[148:151] offset:16
	s_waitcnt vmcnt(3)
	ds_write_b128 v138, v[152:155] offset:32
	;; [unrolled: 2-line block ×3, first 2 shown]
	s_waitcnt vmcnt(1)
	ds_write_b128 v139, v[160:163]
	s_waitcnt vmcnt(0)
	ds_write_b128 v139, v[164:167] offset:16
	v_mfma_f32_32x32x16_f16 v[18:33], v[172:175], v[168:171], v[18:33]
	s_cbranch_scc1 .LBB1_5
; %bb.6:
	v_mov_b32_e32 v130, v133
.LBB1_7:
	v_lshlrev_b32_e32 v131, 1, v131
	s_load_dword s1, s[10:11], 0x0
	s_load_dword s0, s[20:21], 0x0
	s_waitcnt lgkmcnt(0)
	s_barrier
	ds_read_b128 v[134:137], v131
	v_lshlrev_b32_e32 v132, 1, v132
	ds_read_b128 v[138:141], v132 offset:16400
	ds_read_b128 v[142:145], v132 offset:17424
	;; [unrolled: 1-line block ×5, first 2 shown]
	s_mul_i32 s2, s7, s5
	s_mul_hi_u32 s3, 0, s5
	s_waitcnt lgkmcnt(4)
	v_mfma_f32_32x32x16_f16 v[114:129], v[134:137], v[138:141], v[114:129]
	s_add_i32 s2, s3, s2
	v_lshrrev_b32_e32 v174, 7, v0
	ds_read_b128 v[158:161], v132 offset:19488
	ds_read_b128 v[162:165], v131 offset:5136
	s_add_i32 s2, s2, s4
	v_lshlrev_b32_e32 v132, 6, v174
	v_lshrrev_b32_e32 v0, 3, v0
	s_lshl_b32 s3, s2, 1
	s_waitcnt lgkmcnt(2)
	v_mfma_f32_32x32x16_f16 v[114:129], v[150:153], v[154:157], v[114:129]
	s_lshl_b32 s2, s1, 5
	v_sub_u32_e32 v1, v1, v132
	s_lshr_b32 s1, s24, 6
	v_and_b32_e32 v0, 4, v0
	v_add_u32_e32 v1, s25, v1
	s_mul_i32 s1, s2, s1
	v_lshl_or_b32 v0, v174, 5, v0
	v_mfma_f32_32x32x16_f16 v[98:113], v[134:137], v[142:145], v[98:113]
	s_lshl_b32 s0, s0, 5
	v_lshrrev_b32_e32 v1, 6, v1
	v_add_u32_e32 v0, s1, v0
	v_mul_lo_u32 v1, s0, v1
	v_mul_lo_u32 v0, v0, s5
	v_add3_u32 v0, v130, v1, v0
	v_cvt_f16_f32_e32 v1, v114
	v_cvt_f16_f32_e32 v115, v115
	s_add_i32 s10, s3, 2
	s_and_b32 s9, s9, 0xffff
	s_mov_b32 s11, 0x20000
	v_lshlrev_b32_e32 v114, 1, v0
	ds_read_b128 v[132:135], v131 offset:2048
	ds_read_b128 v[166:169], v131 offset:3072
	s_waitcnt lgkmcnt(3)
	v_mfma_f32_32x32x16_f16 v[98:113], v[150:153], v[158:161], v[98:113]
	ds_read_b128 v[150:153], v131 offset:6160
	ds_read_b128 v[170:173], v131 offset:7184
	buffer_store_short v1, v114, s[8:11], 0 offen
	v_add_u32_e32 v1, s5, v0
	v_lshlrev_b32_e32 v114, 1, v1
	buffer_store_short v115, v114, s[8:11], 0 offen
	v_cvt_f16_f32_e32 v114, v116
	v_add_u32_e32 v115, s5, v1
	v_cvt_f16_f32_e32 v117, v117
	v_lshlrev_b32_e32 v116, 1, v115
	buffer_store_short v114, v116, s[8:11], 0 offen
	v_add_u32_e32 v114, s5, v115
	v_lshlrev_b32_e32 v116, 1, v114
	buffer_store_short v117, v116, s[8:11], 0 offen
	v_cvt_f16_f32_e32 v116, v121
	s_lshl_b32 s1, s5, 3
	v_add_u32_e32 v114, s1, v114
	v_lshlrev_b32_e32 v117, 1, v114
	buffer_store_short v116, v117, s[8:11], 0 offen
	v_cvt_f16_f32_e32 v116, v120
	v_cvt_f16_f32_e32 v119, v119
	v_add_u32_e32 v115, s1, v115
	v_lshlrev_b32_e32 v117, 1, v115
	v_add_u32_e32 v1, s1, v1
	buffer_store_short v116, v117, s[8:11], 0 offen
	v_lshlrev_b32_e32 v116, 1, v1
	buffer_store_short v119, v116, s[8:11], 0 offen
	v_cvt_f16_f32_e32 v116, v118
	v_cvt_f16_f32_e32 v117, v122
	v_add_u32_e32 v0, s1, v0
	v_lshlrev_b32_e32 v118, 1, v0
	v_add_lshl_u32 v0, v0, s1, 1
	buffer_store_short v116, v118, s[8:11], 0 offen
	buffer_store_short v117, v0, s[8:11], 0 offen
	v_cvt_f16_f32_e32 v0, v123
	v_cvt_f16_f32_e32 v116, v124
	v_add_lshl_u32 v1, v1, s1, 1
	v_cvt_f16_f32_e32 v118, v126
	buffer_store_short v0, v1, s[8:11], 0 offen
	v_cvt_f16_f32_e32 v1, v125
	v_add_lshl_u32 v0, v115, s1, 1
	buffer_store_short v116, v0, s[8:11], 0 offen
	v_add_u32_e32 v0, s1, v114
	v_cvt_f16_f32_e32 v115, v129
	v_lshlrev_b32_e32 v114, 1, v0
	buffer_store_short v1, v114, s[8:11], 0 offen
	v_add_u32_e32 v1, s1, v0
	v_lshlrev_b32_e32 v114, 1, v1
	buffer_store_short v115, v114, s[8:11], 0 offen
	v_cvt_f16_f32_e32 v114, v128
	v_subrev_u32_e32 v115, s5, v1
	v_lshlrev_b32_e32 v116, 1, v115
	v_cvt_f16_f32_e32 v110, v110
	buffer_store_short v114, v116, s[8:11], 0 offen
	v_cvt_f16_f32_e32 v116, v127
	v_subrev_u32_e32 v114, s5, v115
	v_lshlrev_b32_e32 v117, 1, v114
	v_cvt_f16_f32_e32 v111, v111
	buffer_store_short v116, v117, s[8:11], 0 offen
	v_subrev_u32_e32 v116, s5, v114
	v_lshlrev_b32_e32 v117, 1, v116
	v_add_lshl_u32 v116, v116, s0, 1
	buffer_store_short v118, v117, s[8:11], 0 offen
	buffer_store_short v110, v116, s[8:11], 0 offen
	v_cvt_f16_f32_e32 v110, v112
	v_add_lshl_u32 v112, v114, s0, 1
	buffer_store_short v111, v112, s[8:11], 0 offen
	v_add_lshl_u32 v111, v115, s0, 1
	buffer_store_short v110, v111, s[8:11], 0 offen
	v_cvt_f16_f32_e32 v110, v113
	v_cvt_f16_f32_e32 v109, v109
	v_add_u32_e32 v1, s0, v1
	v_lshlrev_b32_e32 v111, 1, v1
	v_add_u32_e32 v0, s0, v0
	v_cvt_f16_f32_e32 v108, v108
	buffer_store_short v110, v111, s[8:11], 0 offen
	v_lshlrev_b32_e32 v110, 1, v0
	buffer_store_short v109, v110, s[8:11], 0 offen
	v_subrev_u32_e32 v109, s5, v0
	v_cvt_f16_f32_e32 v107, v107
	v_lshlrev_b32_e32 v110, 1, v109
	buffer_store_short v108, v110, s[8:11], 0 offen
	v_subrev_u32_e32 v108, s5, v109
	v_cvt_f16_f32_e32 v106, v106
	;; [unrolled: 4-line block ×3, first 2 shown]
	v_mfma_f32_32x32x16_f16 v[82:97], v[146:149], v[142:145], v[82:97]
	v_lshlrev_b32_e32 v108, 1, v107
	buffer_store_short v106, v108, s[8:11], 0 offen
	v_subrev_u32_e32 v106, s1, v107
	v_cvt_f16_f32_e32 v103, v103
	v_lshlrev_b32_e32 v107, 1, v106
	buffer_store_short v102, v107, s[8:11], 0 offen
	v_add_u32_e32 v102, s5, v106
	v_lshlrev_b32_e32 v107, 1, v102
	buffer_store_short v103, v107, s[8:11], 0 offen
	v_cvt_f16_f32_e32 v103, v104
	v_add_u32_e32 v104, s5, v102
	v_cvt_f16_f32_e32 v105, v105
	s_waitcnt lgkmcnt(4)
	v_mfma_f32_32x32x16_f16 v[82:97], v[162:165], v[158:161], v[82:97]
	v_lshlrev_b32_e32 v107, 1, v104
	buffer_store_short v103, v107, s[8:11], 0 offen
	v_add_u32_e32 v103, s5, v104
	v_cvt_f16_f32_e32 v101, v101
	v_lshlrev_b32_e32 v107, 1, v103
	buffer_store_short v105, v107, s[8:11], 0 offen
	v_subrev_u32_e32 v105, s1, v103
	v_cvt_f16_f32_e32 v100, v100
	v_lshlrev_b32_e32 v107, 1, v105
	buffer_store_short v101, v107, s[8:11], 0 offen
	v_subrev_u32_e32 v101, s5, v105
	;; [unrolled: 4-line block ×3, first 2 shown]
	v_cvt_f16_f32_e32 v98, v98
	v_lshlrev_b32_e32 v107, 1, v100
	v_cvt_f16_f32_e32 v82, v82
	buffer_store_short v99, v107, s[8:11], 0 offen
	v_subrev_u32_e32 v99, s5, v100
	v_cvt_f16_f32_e32 v83, v83
	v_lshlrev_b32_e32 v107, 1, v99
	s_mul_i32 s2, s5, s2
	v_cvt_f16_f32_e32 v84, v84
	buffer_store_short v98, v107, s[8:11], 0 offen
	v_add_lshl_u32 v98, v99, s2, 1
	buffer_store_short v82, v98, s[8:11], 0 offen
	v_add_lshl_u32 v82, v100, s2, 1
	;; [unrolled: 2-line block ×3, first 2 shown]
	v_cvt_f16_f32_e32 v83, v85
	buffer_store_short v84, v82, s[8:11], 0 offen
	v_cvt_f16_f32_e32 v82, v89
	v_add_lshl_u32 v84, v105, s2, 1
	buffer_store_short v83, v84, s[8:11], 0 offen
	v_add_lshl_u32 v83, v103, s2, 1
	buffer_store_short v82, v83, s[8:11], 0 offen
	v_cvt_f16_f32_e32 v82, v88
	v_add_u32_e32 v83, s2, v104
	v_cvt_f16_f32_e32 v85, v87
	v_lshlrev_b32_e32 v84, 1, v83
	buffer_store_short v82, v84, s[8:11], 0 offen
	v_add_u32_e32 v82, s2, v102
	v_lshlrev_b32_e32 v84, 1, v82
	buffer_store_short v85, v84, s[8:11], 0 offen
	v_cvt_f16_f32_e32 v84, v86
	v_add_u32_e32 v85, s2, v106
	v_cvt_f16_f32_e32 v87, v90
	v_lshlrev_b32_e32 v86, 1, v85
	buffer_store_short v84, v86, s[8:11], 0 offen
	v_add_lshl_u32 v84, v85, s1, 1
	v_cvt_f16_f32_e32 v85, v91
	v_mfma_f32_32x32x16_f16 v[66:81], v[146:149], v[138:141], v[66:81]
	buffer_store_short v87, v84, s[8:11], 0 offen
	v_cvt_f16_f32_e32 v84, v92
	v_add_lshl_u32 v82, v82, s1, 1
	buffer_store_short v85, v82, s[8:11], 0 offen
	v_add_lshl_u32 v82, v83, s1, 1
	v_cvt_f16_f32_e32 v83, v93
	buffer_store_short v84, v82, s[8:11], 0 offen
	v_cvt_f16_f32_e32 v82, v97
	v_add_lshl_u32 v0, v0, s2, 1
	buffer_store_short v83, v0, s[8:11], 0 offen
	v_add_u32_e32 v0, s2, v1
	v_mfma_f32_32x32x16_f16 v[66:81], v[162:165], v[154:157], v[66:81]
	v_lshlrev_b32_e32 v1, 1, v0
	buffer_store_short v82, v1, s[8:11], 0 offen
	v_cvt_f16_f32_e32 v1, v96
	v_subrev_u32_e32 v82, s5, v0
	v_cvt_f16_f32_e32 v84, v95
	v_lshlrev_b32_e32 v83, 1, v82
	buffer_store_short v1, v83, s[8:11], 0 offen
	v_subrev_u32_e32 v1, s5, v82
	v_lshlrev_b32_e32 v82, 1, v1
	buffer_store_short v84, v82, s[8:11], 0 offen
	v_cvt_f16_f32_e32 v82, v94
	s_nop 0
	v_cvt_f16_f32_e32 v78, v78
	v_subrev_u32_e32 v1, s5, v1
	v_lshlrev_b32_e32 v83, 1, v1
	v_subrev_u32_e32 v1, s0, v1
	buffer_store_short v82, v83, s[8:11], 0 offen
	v_lshlrev_b32_e32 v82, 1, v1
	buffer_store_short v78, v82, s[8:11], 0 offen
	v_cvt_f16_f32_e32 v78, v79
	v_add_u32_e32 v79, s5, v1
	v_cvt_f16_f32_e32 v80, v80
	v_lshlrev_b32_e32 v82, 1, v79
	buffer_store_short v78, v82, s[8:11], 0 offen
	v_add_u32_e32 v78, s5, v79
	v_lshlrev_b32_e32 v82, 1, v78
	buffer_store_short v80, v82, s[8:11], 0 offen
	v_cvt_f16_f32_e32 v80, v81
	v_add_u32_e32 v81, s5, v78
	v_cvt_f16_f32_e32 v77, v77
	v_lshlrev_b32_e32 v82, 1, v81
	buffer_store_short v80, v82, s[8:11], 0 offen
	v_subrev_u32_e32 v80, s1, v81
	v_cvt_f16_f32_e32 v76, v76
	v_lshlrev_b32_e32 v82, 1, v80
	buffer_store_short v77, v82, s[8:11], 0 offen
	v_subrev_u32_e32 v77, s5, v80
	;; [unrolled: 4-line block ×5, first 2 shown]
	s_waitcnt lgkmcnt(3)
	v_mfma_f32_32x32x16_f16 v[50:65], v[132:135], v[138:141], v[50:65]
	v_lshlrev_b32_e32 v75, 1, v74
	buffer_store_short v70, v75, s[8:11], 0 offen
	v_cvt_f16_f32_e32 v70, v71
	v_add_u32_e32 v71, s5, v74
	v_cvt_f16_f32_e32 v72, v72
	v_lshlrev_b32_e32 v75, 1, v71
	buffer_store_short v70, v75, s[8:11], 0 offen
	v_add_u32_e32 v70, s5, v71
	v_lshlrev_b32_e32 v75, 1, v70
	buffer_store_short v72, v75, s[8:11], 0 offen
	v_cvt_f16_f32_e32 v72, v73
	s_waitcnt lgkmcnt(1)
	v_mfma_f32_32x32x16_f16 v[50:65], v[150:153], v[154:157], v[50:65]
	v_add_u32_e32 v73, s5, v70
	v_cvt_f16_f32_e32 v69, v69
	v_lshlrev_b32_e32 v75, 1, v73
	buffer_store_short v72, v75, s[8:11], 0 offen
	v_subrev_u32_e32 v72, s1, v73
	v_cvt_f16_f32_e32 v68, v68
	v_lshlrev_b32_e32 v75, 1, v72
	buffer_store_short v69, v75, s[8:11], 0 offen
	v_subrev_u32_e32 v69, s5, v72
	;; [unrolled: 4-line block ×3, first 2 shown]
	v_cvt_f16_f32_e32 v66, v66
	v_lshlrev_b32_e32 v75, 1, v68
	v_cvt_f16_f32_e32 v50, v50
	buffer_store_short v67, v75, s[8:11], 0 offen
	v_subrev_u32_e32 v67, s5, v68
	v_cvt_f16_f32_e32 v51, v51
	v_lshlrev_b32_e32 v75, 1, v67
	v_cvt_f16_f32_e32 v52, v52
	buffer_store_short v66, v75, s[8:11], 0 offen
	v_add_lshl_u32 v66, v67, s2, 1
	buffer_store_short v50, v66, s[8:11], 0 offen
	v_add_lshl_u32 v50, v68, s2, 1
	;; [unrolled: 2-line block ×3, first 2 shown]
	v_cvt_f16_f32_e32 v51, v53
	buffer_store_short v52, v50, s[8:11], 0 offen
	v_cvt_f16_f32_e32 v50, v57
	v_add_lshl_u32 v52, v72, s2, 1
	buffer_store_short v51, v52, s[8:11], 0 offen
	v_add_lshl_u32 v51, v73, s2, 1
	buffer_store_short v50, v51, s[8:11], 0 offen
	v_cvt_f16_f32_e32 v50, v56
	v_add_u32_e32 v51, s2, v70
	v_cvt_f16_f32_e32 v53, v55
	v_lshlrev_b32_e32 v52, 1, v51
	buffer_store_short v50, v52, s[8:11], 0 offen
	v_add_u32_e32 v50, s2, v71
	v_lshlrev_b32_e32 v52, 1, v50
	buffer_store_short v53, v52, s[8:11], 0 offen
	v_cvt_f16_f32_e32 v52, v54
	v_cvt_f16_f32_e32 v55, v58
	v_add_u32_e32 v53, s2, v74
	v_mfma_f32_32x32x16_f16 v[34:49], v[132:135], v[142:145], v[34:49]
	v_lshlrev_b32_e32 v54, 1, v53
	buffer_store_short v52, v54, s[8:11], 0 offen
	v_add_lshl_u32 v52, v53, s1, 1
	v_cvt_f16_f32_e32 v53, v59
	buffer_store_short v55, v52, s[8:11], 0 offen
	v_cvt_f16_f32_e32 v52, v60
	v_add_lshl_u32 v50, v50, s1, 1
	buffer_store_short v53, v50, s[8:11], 0 offen
	v_add_lshl_u32 v50, v51, s1, 1
	v_cvt_f16_f32_e32 v51, v61
	buffer_store_short v52, v50, s[8:11], 0 offen
	v_cvt_f16_f32_e32 v50, v65
	v_mfma_f32_32x32x16_f16 v[34:49], v[150:153], v[158:161], v[34:49]
	v_add_lshl_u32 v52, v80, s2, 1
	buffer_store_short v51, v52, s[8:11], 0 offen
	v_add_lshl_u32 v51, v81, s2, 1
	buffer_store_short v50, v51, s[8:11], 0 offen
	v_cvt_f16_f32_e32 v50, v64
	v_add_u32_e32 v51, s2, v78
	v_cvt_f16_f32_e32 v53, v63
	v_lshlrev_b32_e32 v52, 1, v51
	buffer_store_short v50, v52, s[8:11], 0 offen
	v_add_u32_e32 v50, s2, v79
	v_lshlrev_b32_e32 v52, 1, v50
	buffer_store_short v53, v52, s[8:11], 0 offen
	v_cvt_f16_f32_e32 v52, v62
	v_cvt_f16_f32_e32 v46, v46
	v_add_u32_e32 v1, s2, v1
	v_lshlrev_b32_e32 v53, 1, v1
	v_add_lshl_u32 v1, v1, s0, 1
	v_cvt_f16_f32_e32 v47, v47
	buffer_store_short v52, v53, s[8:11], 0 offen
	buffer_store_short v46, v1, s[8:11], 0 offen
	v_cvt_f16_f32_e32 v1, v48
	v_add_lshl_u32 v46, v50, s0, 1
	buffer_store_short v47, v46, s[8:11], 0 offen
	v_add_lshl_u32 v46, v51, s0, 1
	buffer_store_short v1, v46, s[8:11], 0 offen
	v_cvt_f16_f32_e32 v1, v49
	v_add_u32_e32 v0, s2, v0
	v_cvt_f16_f32_e32 v45, v45
	v_lshlrev_b32_e32 v46, 1, v0
	buffer_store_short v1, v46, s[8:11], 0 offen
	v_subrev_u32_e32 v1, s1, v0
	v_cvt_f16_f32_e32 v44, v44
	v_lshlrev_b32_e32 v46, 1, v1
	buffer_store_short v45, v46, s[8:11], 0 offen
	v_subrev_u32_e32 v45, s5, v1
	;; [unrolled: 4-line block ×5, first 2 shown]
	v_mfma_f32_32x32x16_f16 v[18:33], v[166:169], v[142:145], v[18:33]
	v_lshlrev_b32_e32 v43, 1, v42
	buffer_store_short v38, v43, s[8:11], 0 offen
	v_cvt_f16_f32_e32 v38, v39
	v_add_u32_e32 v39, s5, v42
	v_cvt_f16_f32_e32 v40, v40
	v_lshlrev_b32_e32 v43, 1, v39
	buffer_store_short v38, v43, s[8:11], 0 offen
	v_add_u32_e32 v38, s5, v39
	v_lshlrev_b32_e32 v43, 1, v38
	buffer_store_short v40, v43, s[8:11], 0 offen
	v_cvt_f16_f32_e32 v40, v41
	s_waitcnt lgkmcnt(0)
	v_mfma_f32_32x32x16_f16 v[18:33], v[170:173], v[158:161], v[18:33]
	v_add_u32_e32 v41, s5, v38
	v_cvt_f16_f32_e32 v37, v37
	v_lshlrev_b32_e32 v43, 1, v41
	buffer_store_short v40, v43, s[8:11], 0 offen
	v_subrev_u32_e32 v40, s1, v41
	v_cvt_f16_f32_e32 v36, v36
	v_lshlrev_b32_e32 v43, 1, v40
	buffer_store_short v37, v43, s[8:11], 0 offen
	v_subrev_u32_e32 v37, s5, v40
	;; [unrolled: 4-line block ×3, first 2 shown]
	v_cvt_f16_f32_e32 v34, v34
	v_lshlrev_b32_e32 v43, 1, v36
	v_cvt_f16_f32_e32 v18, v18
	buffer_store_short v35, v43, s[8:11], 0 offen
	v_subrev_u32_e32 v35, s5, v36
	v_cvt_f16_f32_e32 v19, v19
	v_lshlrev_b32_e32 v43, 1, v35
	v_cvt_f16_f32_e32 v20, v20
	buffer_store_short v34, v43, s[8:11], 0 offen
	v_add_lshl_u32 v34, v35, s2, 1
	buffer_store_short v18, v34, s[8:11], 0 offen
	v_add_lshl_u32 v18, v36, s2, 1
	;; [unrolled: 2-line block ×3, first 2 shown]
	v_cvt_f16_f32_e32 v19, v21
	buffer_store_short v20, v18, s[8:11], 0 offen
	v_cvt_f16_f32_e32 v18, v25
	v_add_lshl_u32 v20, v40, s2, 1
	buffer_store_short v19, v20, s[8:11], 0 offen
	v_add_lshl_u32 v19, v41, s2, 1
	buffer_store_short v18, v19, s[8:11], 0 offen
	v_cvt_f16_f32_e32 v18, v24
	v_add_u32_e32 v19, s2, v38
	v_cvt_f16_f32_e32 v21, v23
	v_lshlrev_b32_e32 v20, 1, v19
	buffer_store_short v18, v20, s[8:11], 0 offen
	v_add_u32_e32 v18, s2, v39
	v_lshlrev_b32_e32 v20, 1, v18
	buffer_store_short v21, v20, s[8:11], 0 offen
	v_cvt_f16_f32_e32 v20, v22
	v_add_u32_e32 v21, s2, v42
	v_lshlrev_b32_e32 v22, 1, v21
	v_cvt_f16_f32_e32 v23, v26
	buffer_store_short v20, v22, s[8:11], 0 offen
	v_add_lshl_u32 v20, v21, s1, 1
	v_cvt_f16_f32_e32 v21, v27
	v_mfma_f32_32x32x16_f16 v[2:17], v[166:169], v[138:141], v[2:17]
	v_add_lshl_u32 v18, v18, s1, 1
	buffer_store_short v23, v20, s[8:11], 0 offen
	v_cvt_f16_f32_e32 v20, v28
	buffer_store_short v21, v18, s[8:11], 0 offen
	v_cvt_f16_f32_e32 v18, v29
	v_add_lshl_u32 v19, v19, s1, 1
	v_add_lshl_u32 v1, v1, s2, 1
	buffer_store_short v20, v19, s[8:11], 0 offen
	buffer_store_short v18, v1, s[8:11], 0 offen
	v_cvt_f16_f32_e32 v1, v33
	v_cvt_f16_f32_e32 v19, v32
	v_mfma_f32_32x32x16_f16 v[2:17], v[170:173], v[154:157], v[2:17]
	v_add_u32_e32 v0, s2, v0
	v_lshlrev_b32_e32 v18, 1, v0
	v_subrev_u32_e32 v0, s5, v0
	buffer_store_short v1, v18, s[8:11], 0 offen
	v_lshlrev_b32_e32 v1, 1, v0
	buffer_store_short v19, v1, s[8:11], 0 offen
	v_cvt_f16_f32_e32 v1, v31
	v_cvt_f16_f32_e32 v19, v30
	v_subrev_u32_e32 v0, s5, v0
	v_lshlrev_b32_e32 v18, 1, v0
	v_subrev_u32_e32 v0, s5, v0
	buffer_store_short v1, v18, s[8:11], 0 offen
	v_lshlrev_b32_e32 v1, 1, v0
	buffer_store_short v19, v1, s[8:11], 0 offen
	v_cvt_f16_f32_e32 v1, v14
	v_cvt_f16_f32_e32 v15, v15
	v_subrev_u32_e32 v0, s0, v0
	v_lshlrev_b32_e32 v14, 1, v0
	v_add_u32_e32 v0, s5, v0
	buffer_store_short v1, v14, s[8:11], 0 offen
	v_lshlrev_b32_e32 v1, 1, v0
	buffer_store_short v15, v1, s[8:11], 0 offen
	v_cvt_f16_f32_e32 v1, v16
	v_cvt_f16_f32_e32 v15, v17
	v_add_u32_e32 v0, s5, v0
	v_lshlrev_b32_e32 v14, 1, v0
	v_add_u32_e32 v0, s5, v0
	buffer_store_short v1, v14, s[8:11], 0 offen
	v_lshlrev_b32_e32 v1, 1, v0
	buffer_store_short v15, v1, s[8:11], 0 offen
	v_cvt_f16_f32_e32 v1, v13
	v_cvt_f16_f32_e32 v12, v12
	v_subrev_u32_e32 v0, s1, v0
	v_lshlrev_b32_e32 v13, 1, v0
	v_subrev_u32_e32 v0, s5, v0
	buffer_store_short v1, v13, s[8:11], 0 offen
	v_lshlrev_b32_e32 v1, 1, v0
	buffer_store_short v12, v1, s[8:11], 0 offen
	v_cvt_f16_f32_e32 v1, v11
	v_cvt_f16_f32_e32 v10, v10
	v_subrev_u32_e32 v0, s5, v0
	v_lshlrev_b32_e32 v11, 1, v0
	v_subrev_u32_e32 v0, s5, v0
	buffer_store_short v1, v11, s[8:11], 0 offen
	v_lshlrev_b32_e32 v1, 1, v0
	buffer_store_short v10, v1, s[8:11], 0 offen
	v_cvt_f16_f32_e32 v1, v6
	v_cvt_f16_f32_e32 v7, v7
	v_subrev_u32_e32 v0, s1, v0
	v_lshlrev_b32_e32 v6, 1, v0
	v_add_u32_e32 v0, s5, v0
	buffer_store_short v1, v6, s[8:11], 0 offen
	v_lshlrev_b32_e32 v1, 1, v0
	buffer_store_short v7, v1, s[8:11], 0 offen
	v_cvt_f16_f32_e32 v1, v8
	v_cvt_f16_f32_e32 v7, v9
	v_add_u32_e32 v0, s5, v0
	v_lshlrev_b32_e32 v6, 1, v0
	v_add_u32_e32 v0, s5, v0
	buffer_store_short v1, v6, s[8:11], 0 offen
	v_lshlrev_b32_e32 v1, 1, v0
	buffer_store_short v7, v1, s[8:11], 0 offen
	v_cvt_f16_f32_e32 v1, v5
	v_cvt_f16_f32_e32 v4, v4
	v_subrev_u32_e32 v0, s1, v0
	v_lshlrev_b32_e32 v5, 1, v0
	v_subrev_u32_e32 v0, s5, v0
	buffer_store_short v1, v5, s[8:11], 0 offen
	v_lshlrev_b32_e32 v1, 1, v0
	buffer_store_short v4, v1, s[8:11], 0 offen
	v_cvt_f16_f32_e32 v1, v3
	v_cvt_f16_f32_e32 v2, v2
	v_subrev_u32_e32 v0, s5, v0
	v_lshlrev_b32_e32 v3, 1, v0
	v_subrev_u32_e32 v0, s5, v0
	v_lshlrev_b32_e32 v0, 1, v0
	buffer_store_short v1, v3, s[8:11], 0 offen
	buffer_store_short v2, v0, s[8:11], 0 offen
	s_endpgm
	.section	.rodata,"a",@progbits
	.p2align	6, 0x0
	.amdhsa_kernel _Z10DeviceGemmIDF16_N2ck7wrapper48BlockwisGemmXdlTraits_32x32Xdl_4x2XdlPerWave_8K1ELi8ENS0_5TupleIJNS0_17integral_constantIiLi256EEENS4_IiLi128EEENS4_IiLi32EEEEEENS1_6LayoutINS3_IJNS4_IiLi4EEENS4_IiLi64EEENS4_IiLi1EEEEEENS0_16TensorDescriptorINS3_IJNS0_5EmbedISD_NS3_IJSC_SA_SC_EEELb0EEEEEENS3_IJNS0_8SequenceIJLi0EEEEEEENS3_IJNSJ_IJLi1ELi2ELi3EEEEEEESM_NS4_IlLl256EEEEEEELb0EEvPKvSS_PviiiT2_T3_
		.amdhsa_group_segment_fixed_size 24600
		.amdhsa_private_segment_fixed_size 0
		.amdhsa_kernarg_size 76
		.amdhsa_user_sgpr_count 2
		.amdhsa_user_sgpr_dispatch_ptr 0
		.amdhsa_user_sgpr_queue_ptr 0
		.amdhsa_user_sgpr_kernarg_segment_ptr 1
		.amdhsa_user_sgpr_dispatch_id 0
		.amdhsa_user_sgpr_kernarg_preload_length 0
		.amdhsa_user_sgpr_kernarg_preload_offset 0
		.amdhsa_user_sgpr_private_segment_size 0
		.amdhsa_uses_dynamic_stack 0
		.amdhsa_enable_private_segment 0
		.amdhsa_system_sgpr_workgroup_id_x 1
		.amdhsa_system_sgpr_workgroup_id_y 1
		.amdhsa_system_sgpr_workgroup_id_z 0
		.amdhsa_system_sgpr_workgroup_info 0
		.amdhsa_system_vgpr_workitem_id 0
		.amdhsa_next_free_vgpr 178
		.amdhsa_next_free_sgpr 91
		.amdhsa_accum_offset 180
		.amdhsa_reserve_vcc 1
		.amdhsa_float_round_mode_32 0
		.amdhsa_float_round_mode_16_64 0
		.amdhsa_float_denorm_mode_32 3
		.amdhsa_float_denorm_mode_16_64 3
		.amdhsa_dx10_clamp 1
		.amdhsa_ieee_mode 1
		.amdhsa_fp16_overflow 0
		.amdhsa_tg_split 0
		.amdhsa_exception_fp_ieee_invalid_op 0
		.amdhsa_exception_fp_denorm_src 0
		.amdhsa_exception_fp_ieee_div_zero 0
		.amdhsa_exception_fp_ieee_overflow 0
		.amdhsa_exception_fp_ieee_underflow 0
		.amdhsa_exception_fp_ieee_inexact 0
		.amdhsa_exception_int_div_zero 0
	.end_amdhsa_kernel
	.section	.text._Z10DeviceGemmIDF16_N2ck7wrapper48BlockwisGemmXdlTraits_32x32Xdl_4x2XdlPerWave_8K1ELi8ENS0_5TupleIJNS0_17integral_constantIiLi256EEENS4_IiLi128EEENS4_IiLi32EEEEEENS1_6LayoutINS3_IJNS4_IiLi4EEENS4_IiLi64EEENS4_IiLi1EEEEEENS0_16TensorDescriptorINS3_IJNS0_5EmbedISD_NS3_IJSC_SA_SC_EEELb0EEEEEENS3_IJNS0_8SequenceIJLi0EEEEEEENS3_IJNSJ_IJLi1ELi2ELi3EEEEEEESM_NS4_IlLl256EEEEEEELb0EEvPKvSS_PviiiT2_T3_,"axG",@progbits,_Z10DeviceGemmIDF16_N2ck7wrapper48BlockwisGemmXdlTraits_32x32Xdl_4x2XdlPerWave_8K1ELi8ENS0_5TupleIJNS0_17integral_constantIiLi256EEENS4_IiLi128EEENS4_IiLi32EEEEEENS1_6LayoutINS3_IJNS4_IiLi4EEENS4_IiLi64EEENS4_IiLi1EEEEEENS0_16TensorDescriptorINS3_IJNS0_5EmbedISD_NS3_IJSC_SA_SC_EEELb0EEEEEENS3_IJNS0_8SequenceIJLi0EEEEEEENS3_IJNSJ_IJLi1ELi2ELi3EEEEEEESM_NS4_IlLl256EEEEEEELb0EEvPKvSS_PviiiT2_T3_,comdat
.Lfunc_end1:
	.size	_Z10DeviceGemmIDF16_N2ck7wrapper48BlockwisGemmXdlTraits_32x32Xdl_4x2XdlPerWave_8K1ELi8ENS0_5TupleIJNS0_17integral_constantIiLi256EEENS4_IiLi128EEENS4_IiLi32EEEEEENS1_6LayoutINS3_IJNS4_IiLi4EEENS4_IiLi64EEENS4_IiLi1EEEEEENS0_16TensorDescriptorINS3_IJNS0_5EmbedISD_NS3_IJSC_SA_SC_EEELb0EEEEEENS3_IJNS0_8SequenceIJLi0EEEEEEENS3_IJNSJ_IJLi1ELi2ELi3EEEEEEESM_NS4_IlLl256EEEEEEELb0EEvPKvSS_PviiiT2_T3_, .Lfunc_end1-_Z10DeviceGemmIDF16_N2ck7wrapper48BlockwisGemmXdlTraits_32x32Xdl_4x2XdlPerWave_8K1ELi8ENS0_5TupleIJNS0_17integral_constantIiLi256EEENS4_IiLi128EEENS4_IiLi32EEEEEENS1_6LayoutINS3_IJNS4_IiLi4EEENS4_IiLi64EEENS4_IiLi1EEEEEENS0_16TensorDescriptorINS3_IJNS0_5EmbedISD_NS3_IJSC_SA_SC_EEELb0EEEEEENS3_IJNS0_8SequenceIJLi0EEEEEEENS3_IJNSJ_IJLi1ELi2ELi3EEEEEEESM_NS4_IlLl256EEEEEEELb0EEvPKvSS_PviiiT2_T3_
                                        ; -- End function
	.set _Z10DeviceGemmIDF16_N2ck7wrapper48BlockwisGemmXdlTraits_32x32Xdl_4x2XdlPerWave_8K1ELi8ENS0_5TupleIJNS0_17integral_constantIiLi256EEENS4_IiLi128EEENS4_IiLi32EEEEEENS1_6LayoutINS3_IJNS4_IiLi4EEENS4_IiLi64EEENS4_IiLi1EEEEEENS0_16TensorDescriptorINS3_IJNS0_5EmbedISD_NS3_IJSC_SA_SC_EEELb0EEEEEENS3_IJNS0_8SequenceIJLi0EEEEEEENS3_IJNSJ_IJLi1ELi2ELi3EEEEEEESM_NS4_IlLl256EEEEEEELb0EEvPKvSS_PviiiT2_T3_.num_vgpr, 178
	.set _Z10DeviceGemmIDF16_N2ck7wrapper48BlockwisGemmXdlTraits_32x32Xdl_4x2XdlPerWave_8K1ELi8ENS0_5TupleIJNS0_17integral_constantIiLi256EEENS4_IiLi128EEENS4_IiLi32EEEEEENS1_6LayoutINS3_IJNS4_IiLi4EEENS4_IiLi64EEENS4_IiLi1EEEEEENS0_16TensorDescriptorINS3_IJNS0_5EmbedISD_NS3_IJSC_SA_SC_EEELb0EEEEEENS3_IJNS0_8SequenceIJLi0EEEEEEENS3_IJNSJ_IJLi1ELi2ELi3EEEEEEESM_NS4_IlLl256EEEEEEELb0EEvPKvSS_PviiiT2_T3_.num_agpr, 0
	.set _Z10DeviceGemmIDF16_N2ck7wrapper48BlockwisGemmXdlTraits_32x32Xdl_4x2XdlPerWave_8K1ELi8ENS0_5TupleIJNS0_17integral_constantIiLi256EEENS4_IiLi128EEENS4_IiLi32EEEEEENS1_6LayoutINS3_IJNS4_IiLi4EEENS4_IiLi64EEENS4_IiLi1EEEEEENS0_16TensorDescriptorINS3_IJNS0_5EmbedISD_NS3_IJSC_SA_SC_EEELb0EEEEEENS3_IJNS0_8SequenceIJLi0EEEEEEENS3_IJNSJ_IJLi1ELi2ELi3EEEEEEESM_NS4_IlLl256EEEEEEELb0EEvPKvSS_PviiiT2_T3_.numbered_sgpr, 26
	.set _Z10DeviceGemmIDF16_N2ck7wrapper48BlockwisGemmXdlTraits_32x32Xdl_4x2XdlPerWave_8K1ELi8ENS0_5TupleIJNS0_17integral_constantIiLi256EEENS4_IiLi128EEENS4_IiLi32EEEEEENS1_6LayoutINS3_IJNS4_IiLi4EEENS4_IiLi64EEENS4_IiLi1EEEEEENS0_16TensorDescriptorINS3_IJNS0_5EmbedISD_NS3_IJSC_SA_SC_EEELb0EEEEEENS3_IJNS0_8SequenceIJLi0EEEEEEENS3_IJNSJ_IJLi1ELi2ELi3EEEEEEESM_NS4_IlLl256EEEEEEELb0EEvPKvSS_PviiiT2_T3_.num_named_barrier, 0
	.set _Z10DeviceGemmIDF16_N2ck7wrapper48BlockwisGemmXdlTraits_32x32Xdl_4x2XdlPerWave_8K1ELi8ENS0_5TupleIJNS0_17integral_constantIiLi256EEENS4_IiLi128EEENS4_IiLi32EEEEEENS1_6LayoutINS3_IJNS4_IiLi4EEENS4_IiLi64EEENS4_IiLi1EEEEEENS0_16TensorDescriptorINS3_IJNS0_5EmbedISD_NS3_IJSC_SA_SC_EEELb0EEEEEENS3_IJNS0_8SequenceIJLi0EEEEEEENS3_IJNSJ_IJLi1ELi2ELi3EEEEEEESM_NS4_IlLl256EEEEEEELb0EEvPKvSS_PviiiT2_T3_.private_seg_size, 0
	.set _Z10DeviceGemmIDF16_N2ck7wrapper48BlockwisGemmXdlTraits_32x32Xdl_4x2XdlPerWave_8K1ELi8ENS0_5TupleIJNS0_17integral_constantIiLi256EEENS4_IiLi128EEENS4_IiLi32EEEEEENS1_6LayoutINS3_IJNS4_IiLi4EEENS4_IiLi64EEENS4_IiLi1EEEEEENS0_16TensorDescriptorINS3_IJNS0_5EmbedISD_NS3_IJSC_SA_SC_EEELb0EEEEEENS3_IJNS0_8SequenceIJLi0EEEEEEENS3_IJNSJ_IJLi1ELi2ELi3EEEEEEESM_NS4_IlLl256EEEEEEELb0EEvPKvSS_PviiiT2_T3_.uses_vcc, 1
	.set _Z10DeviceGemmIDF16_N2ck7wrapper48BlockwisGemmXdlTraits_32x32Xdl_4x2XdlPerWave_8K1ELi8ENS0_5TupleIJNS0_17integral_constantIiLi256EEENS4_IiLi128EEENS4_IiLi32EEEEEENS1_6LayoutINS3_IJNS4_IiLi4EEENS4_IiLi64EEENS4_IiLi1EEEEEENS0_16TensorDescriptorINS3_IJNS0_5EmbedISD_NS3_IJSC_SA_SC_EEELb0EEEEEENS3_IJNS0_8SequenceIJLi0EEEEEEENS3_IJNSJ_IJLi1ELi2ELi3EEEEEEESM_NS4_IlLl256EEEEEEELb0EEvPKvSS_PviiiT2_T3_.uses_flat_scratch, 0
	.set _Z10DeviceGemmIDF16_N2ck7wrapper48BlockwisGemmXdlTraits_32x32Xdl_4x2XdlPerWave_8K1ELi8ENS0_5TupleIJNS0_17integral_constantIiLi256EEENS4_IiLi128EEENS4_IiLi32EEEEEENS1_6LayoutINS3_IJNS4_IiLi4EEENS4_IiLi64EEENS4_IiLi1EEEEEENS0_16TensorDescriptorINS3_IJNS0_5EmbedISD_NS3_IJSC_SA_SC_EEELb0EEEEEENS3_IJNS0_8SequenceIJLi0EEEEEEENS3_IJNSJ_IJLi1ELi2ELi3EEEEEEESM_NS4_IlLl256EEEEEEELb0EEvPKvSS_PviiiT2_T3_.has_dyn_sized_stack, 0
	.set _Z10DeviceGemmIDF16_N2ck7wrapper48BlockwisGemmXdlTraits_32x32Xdl_4x2XdlPerWave_8K1ELi8ENS0_5TupleIJNS0_17integral_constantIiLi256EEENS4_IiLi128EEENS4_IiLi32EEEEEENS1_6LayoutINS3_IJNS4_IiLi4EEENS4_IiLi64EEENS4_IiLi1EEEEEENS0_16TensorDescriptorINS3_IJNS0_5EmbedISD_NS3_IJSC_SA_SC_EEELb0EEEEEENS3_IJNS0_8SequenceIJLi0EEEEEEENS3_IJNSJ_IJLi1ELi2ELi3EEEEEEESM_NS4_IlLl256EEEEEEELb0EEvPKvSS_PviiiT2_T3_.has_recursion, 0
	.set _Z10DeviceGemmIDF16_N2ck7wrapper48BlockwisGemmXdlTraits_32x32Xdl_4x2XdlPerWave_8K1ELi8ENS0_5TupleIJNS0_17integral_constantIiLi256EEENS4_IiLi128EEENS4_IiLi32EEEEEENS1_6LayoutINS3_IJNS4_IiLi4EEENS4_IiLi64EEENS4_IiLi1EEEEEENS0_16TensorDescriptorINS3_IJNS0_5EmbedISD_NS3_IJSC_SA_SC_EEELb0EEEEEENS3_IJNS0_8SequenceIJLi0EEEEEEENS3_IJNSJ_IJLi1ELi2ELi3EEEEEEESM_NS4_IlLl256EEEEEEELb0EEvPKvSS_PviiiT2_T3_.has_indirect_call, 0
	.section	.AMDGPU.csdata,"",@progbits
; Kernel info:
; codeLenInByte = 5580
; TotalNumSgprs: 32
; NumVgprs: 178
; NumAgprs: 0
; TotalNumVgprs: 178
; ScratchSize: 0
; MemoryBound: 0
; FloatMode: 240
; IeeeMode: 1
; LDSByteSize: 24600 bytes/workgroup (compile time only)
; SGPRBlocks: 12
; VGPRBlocks: 22
; NumSGPRsForWavesPerEU: 97
; NumVGPRsForWavesPerEU: 178
; AccumOffset: 180
; Occupancy: 2
; WaveLimiterHint : 0
; COMPUTE_PGM_RSRC2:SCRATCH_EN: 0
; COMPUTE_PGM_RSRC2:USER_SGPR: 2
; COMPUTE_PGM_RSRC2:TRAP_HANDLER: 0
; COMPUTE_PGM_RSRC2:TGID_X_EN: 1
; COMPUTE_PGM_RSRC2:TGID_Y_EN: 1
; COMPUTE_PGM_RSRC2:TGID_Z_EN: 0
; COMPUTE_PGM_RSRC2:TIDIG_COMP_CNT: 0
; COMPUTE_PGM_RSRC3_GFX90A:ACCUM_OFFSET: 44
; COMPUTE_PGM_RSRC3_GFX90A:TG_SPLIT: 0
	.section	.AMDGPU.gpr_maximums,"",@progbits
	.set amdgpu.max_num_vgpr, 0
	.set amdgpu.max_num_agpr, 0
	.set amdgpu.max_num_sgpr, 0
	.section	.AMDGPU.csdata,"",@progbits
	.protected	_ZN2ck51BlockwiseGemmXdlops_k0mk1_k0nk1_m0n0m1n1m2m3m4n2_v1ILi256EDF16_DF16_fNS_16TensorDescriptorINS_5TupleIJNS_5EmbedINS2_IJNS_17integral_constantIiLi4EEENS4_IiLi256EEENS4_IiLi8EEEEEENS2_IJNS4_IiLi2056EEES7_NS4_IiLi1EEEEEELb0EEEEEENS2_IJNS_8SequenceIJLi0EEEEEEENS2_IJNSE_IJLi1ELi2ELi3EEEEEEESH_NS4_IlLl8216EEEEENS1_INS2_IJNS3_INS2_IJS5_NS4_IiLi128EEES7_EEENS2_IJNS4_IiLi1032EEES7_SA_EEELb0EEEEEESG_SI_SH_NS4_IlLl4120EEEEELi32ELi32ELi4ELi2ELi8EDF16_DF16_E6MWavesE ; @_ZN2ck51BlockwiseGemmXdlops_k0mk1_k0nk1_m0n0m1n1m2m3m4n2_v1ILi256EDF16_DF16_fNS_16TensorDescriptorINS_5TupleIJNS_5EmbedINS2_IJNS_17integral_constantIiLi4EEENS4_IiLi256EEENS4_IiLi8EEEEEENS2_IJNS4_IiLi2056EEES7_NS4_IiLi1EEEEEELb0EEEEEENS2_IJNS_8SequenceIJLi0EEEEEEENS2_IJNSE_IJLi1ELi2ELi3EEEEEEESH_NS4_IlLl8216EEEEENS1_INS2_IJNS3_INS2_IJS5_NS4_IiLi128EEES7_EEENS2_IJNS4_IiLi1032EEES7_SA_EEELb0EEEEEESG_SI_SH_NS4_IlLl4120EEEEELi32ELi32ELi4ELi2ELi8EDF16_DF16_E6MWavesE
	.type	_ZN2ck51BlockwiseGemmXdlops_k0mk1_k0nk1_m0n0m1n1m2m3m4n2_v1ILi256EDF16_DF16_fNS_16TensorDescriptorINS_5TupleIJNS_5EmbedINS2_IJNS_17integral_constantIiLi4EEENS4_IiLi256EEENS4_IiLi8EEEEEENS2_IJNS4_IiLi2056EEES7_NS4_IiLi1EEEEEELb0EEEEEENS2_IJNS_8SequenceIJLi0EEEEEEENS2_IJNSE_IJLi1ELi2ELi3EEEEEEESH_NS4_IlLl8216EEEEENS1_INS2_IJNS3_INS2_IJS5_NS4_IiLi128EEES7_EEENS2_IJNS4_IiLi1032EEES7_SA_EEELb0EEEEEESG_SI_SH_NS4_IlLl4120EEEEELi32ELi32ELi4ELi2ELi8EDF16_DF16_E6MWavesE,@object
	.section	.rodata._ZN2ck51BlockwiseGemmXdlops_k0mk1_k0nk1_m0n0m1n1m2m3m4n2_v1ILi256EDF16_DF16_fNS_16TensorDescriptorINS_5TupleIJNS_5EmbedINS2_IJNS_17integral_constantIiLi4EEENS4_IiLi256EEENS4_IiLi8EEEEEENS2_IJNS4_IiLi2056EEES7_NS4_IiLi1EEEEEELb0EEEEEENS2_IJNS_8SequenceIJLi0EEEEEEENS2_IJNSE_IJLi1ELi2ELi3EEEEEEESH_NS4_IlLl8216EEEEENS1_INS2_IJNS3_INS2_IJS5_NS4_IiLi128EEES7_EEENS2_IJNS4_IiLi1032EEES7_SA_EEELb0EEEEEESG_SI_SH_NS4_IlLl4120EEEEELi32ELi32ELi4ELi2ELi8EDF16_DF16_E6MWavesE,"aG",@progbits,_ZN2ck51BlockwiseGemmXdlops_k0mk1_k0nk1_m0n0m1n1m2m3m4n2_v1ILi256EDF16_DF16_fNS_16TensorDescriptorINS_5TupleIJNS_5EmbedINS2_IJNS_17integral_constantIiLi4EEENS4_IiLi256EEENS4_IiLi8EEEEEENS2_IJNS4_IiLi2056EEES7_NS4_IiLi1EEEEEELb0EEEEEENS2_IJNS_8SequenceIJLi0EEEEEEENS2_IJNSE_IJLi1ELi2ELi3EEEEEEESH_NS4_IlLl8216EEEEENS1_INS2_IJNS3_INS2_IJS5_NS4_IiLi128EEES7_EEENS2_IJNS4_IiLi1032EEES7_SA_EEELb0EEEEEESG_SI_SH_NS4_IlLl4120EEEEELi32ELi32ELi4ELi2ELi8EDF16_DF16_E6MWavesE,comdat
	.weak	_ZN2ck51BlockwiseGemmXdlops_k0mk1_k0nk1_m0n0m1n1m2m3m4n2_v1ILi256EDF16_DF16_fNS_16TensorDescriptorINS_5TupleIJNS_5EmbedINS2_IJNS_17integral_constantIiLi4EEENS4_IiLi256EEENS4_IiLi8EEEEEENS2_IJNS4_IiLi2056EEES7_NS4_IiLi1EEEEEELb0EEEEEENS2_IJNS_8SequenceIJLi0EEEEEEENS2_IJNSE_IJLi1ELi2ELi3EEEEEEESH_NS4_IlLl8216EEEEENS1_INS2_IJNS3_INS2_IJS5_NS4_IiLi128EEES7_EEENS2_IJNS4_IiLi1032EEES7_SA_EEELb0EEEEEESG_SI_SH_NS4_IlLl4120EEEEELi32ELi32ELi4ELi2ELi8EDF16_DF16_E6MWavesE
	.p2align	2, 0x0
_ZN2ck51BlockwiseGemmXdlops_k0mk1_k0nk1_m0n0m1n1m2m3m4n2_v1ILi256EDF16_DF16_fNS_16TensorDescriptorINS_5TupleIJNS_5EmbedINS2_IJNS_17integral_constantIiLi4EEENS4_IiLi256EEENS4_IiLi8EEEEEENS2_IJNS4_IiLi2056EEES7_NS4_IiLi1EEEEEELb0EEEEEENS2_IJNS_8SequenceIJLi0EEEEEEENS2_IJNSE_IJLi1ELi2ELi3EEEEEEESH_NS4_IlLl8216EEEEENS1_INS2_IJNS3_INS2_IJS5_NS4_IiLi128EEES7_EEENS2_IJNS4_IiLi1032EEES7_SA_EEELb0EEEEEESG_SI_SH_NS4_IlLl4120EEEEELi32ELi32ELi4ELi2ELi8EDF16_DF16_E6MWavesE:
	.long	2                               ; 0x2
	.size	_ZN2ck51BlockwiseGemmXdlops_k0mk1_k0nk1_m0n0m1n1m2m3m4n2_v1ILi256EDF16_DF16_fNS_16TensorDescriptorINS_5TupleIJNS_5EmbedINS2_IJNS_17integral_constantIiLi4EEENS4_IiLi256EEENS4_IiLi8EEEEEENS2_IJNS4_IiLi2056EEES7_NS4_IiLi1EEEEEELb0EEEEEENS2_IJNS_8SequenceIJLi0EEEEEEENS2_IJNSE_IJLi1ELi2ELi3EEEEEEESH_NS4_IlLl8216EEEEENS1_INS2_IJNS3_INS2_IJS5_NS4_IiLi128EEES7_EEENS2_IJNS4_IiLi1032EEES7_SA_EEELb0EEEEEESG_SI_SH_NS4_IlLl4120EEEEELi32ELi32ELi4ELi2ELi8EDF16_DF16_E6MWavesE, 4

	.protected	_ZN2ck51BlockwiseGemmXdlops_k0mk1_k0nk1_m0n0m1n1m2m3m4n2_v1ILi256EDF16_DF16_fNS_16TensorDescriptorINS_5TupleIJNS_5EmbedINS2_IJNS_17integral_constantIiLi4EEENS4_IiLi256EEENS4_IiLi8EEEEEENS2_IJNS4_IiLi2056EEES7_NS4_IiLi1EEEEEELb0EEEEEENS2_IJNS_8SequenceIJLi0EEEEEEENS2_IJNSE_IJLi1ELi2ELi3EEEEEEESH_NS4_IlLl8216EEEEENS1_INS2_IJNS3_INS2_IJS5_NS4_IiLi128EEES7_EEENS2_IJNS4_IiLi1032EEES7_SA_EEELb0EEEEEESG_SI_SH_NS4_IlLl4120EEEEELi32ELi32ELi4ELi2ELi8EDF16_DF16_E6NWavesE ; @_ZN2ck51BlockwiseGemmXdlops_k0mk1_k0nk1_m0n0m1n1m2m3m4n2_v1ILi256EDF16_DF16_fNS_16TensorDescriptorINS_5TupleIJNS_5EmbedINS2_IJNS_17integral_constantIiLi4EEENS4_IiLi256EEENS4_IiLi8EEEEEENS2_IJNS4_IiLi2056EEES7_NS4_IiLi1EEEEEELb0EEEEEENS2_IJNS_8SequenceIJLi0EEEEEEENS2_IJNSE_IJLi1ELi2ELi3EEEEEEESH_NS4_IlLl8216EEEEENS1_INS2_IJNS3_INS2_IJS5_NS4_IiLi128EEES7_EEENS2_IJNS4_IiLi1032EEES7_SA_EEELb0EEEEEESG_SI_SH_NS4_IlLl4120EEEEELi32ELi32ELi4ELi2ELi8EDF16_DF16_E6NWavesE
	.type	_ZN2ck51BlockwiseGemmXdlops_k0mk1_k0nk1_m0n0m1n1m2m3m4n2_v1ILi256EDF16_DF16_fNS_16TensorDescriptorINS_5TupleIJNS_5EmbedINS2_IJNS_17integral_constantIiLi4EEENS4_IiLi256EEENS4_IiLi8EEEEEENS2_IJNS4_IiLi2056EEES7_NS4_IiLi1EEEEEELb0EEEEEENS2_IJNS_8SequenceIJLi0EEEEEEENS2_IJNSE_IJLi1ELi2ELi3EEEEEEESH_NS4_IlLl8216EEEEENS1_INS2_IJNS3_INS2_IJS5_NS4_IiLi128EEES7_EEENS2_IJNS4_IiLi1032EEES7_SA_EEELb0EEEEEESG_SI_SH_NS4_IlLl4120EEEEELi32ELi32ELi4ELi2ELi8EDF16_DF16_E6NWavesE,@object
	.section	.rodata._ZN2ck51BlockwiseGemmXdlops_k0mk1_k0nk1_m0n0m1n1m2m3m4n2_v1ILi256EDF16_DF16_fNS_16TensorDescriptorINS_5TupleIJNS_5EmbedINS2_IJNS_17integral_constantIiLi4EEENS4_IiLi256EEENS4_IiLi8EEEEEENS2_IJNS4_IiLi2056EEES7_NS4_IiLi1EEEEEELb0EEEEEENS2_IJNS_8SequenceIJLi0EEEEEEENS2_IJNSE_IJLi1ELi2ELi3EEEEEEESH_NS4_IlLl8216EEEEENS1_INS2_IJNS3_INS2_IJS5_NS4_IiLi128EEES7_EEENS2_IJNS4_IiLi1032EEES7_SA_EEELb0EEEEEESG_SI_SH_NS4_IlLl4120EEEEELi32ELi32ELi4ELi2ELi8EDF16_DF16_E6NWavesE,"aG",@progbits,_ZN2ck51BlockwiseGemmXdlops_k0mk1_k0nk1_m0n0m1n1m2m3m4n2_v1ILi256EDF16_DF16_fNS_16TensorDescriptorINS_5TupleIJNS_5EmbedINS2_IJNS_17integral_constantIiLi4EEENS4_IiLi256EEENS4_IiLi8EEEEEENS2_IJNS4_IiLi2056EEES7_NS4_IiLi1EEEEEELb0EEEEEENS2_IJNS_8SequenceIJLi0EEEEEEENS2_IJNSE_IJLi1ELi2ELi3EEEEEEESH_NS4_IlLl8216EEEEENS1_INS2_IJNS3_INS2_IJS5_NS4_IiLi128EEES7_EEENS2_IJNS4_IiLi1032EEES7_SA_EEELb0EEEEEESG_SI_SH_NS4_IlLl4120EEEEELi32ELi32ELi4ELi2ELi8EDF16_DF16_E6NWavesE,comdat
	.weak	_ZN2ck51BlockwiseGemmXdlops_k0mk1_k0nk1_m0n0m1n1m2m3m4n2_v1ILi256EDF16_DF16_fNS_16TensorDescriptorINS_5TupleIJNS_5EmbedINS2_IJNS_17integral_constantIiLi4EEENS4_IiLi256EEENS4_IiLi8EEEEEENS2_IJNS4_IiLi2056EEES7_NS4_IiLi1EEEEEELb0EEEEEENS2_IJNS_8SequenceIJLi0EEEEEEENS2_IJNSE_IJLi1ELi2ELi3EEEEEEESH_NS4_IlLl8216EEEEENS1_INS2_IJNS3_INS2_IJS5_NS4_IiLi128EEES7_EEENS2_IJNS4_IiLi1032EEES7_SA_EEELb0EEEEEESG_SI_SH_NS4_IlLl4120EEEEELi32ELi32ELi4ELi2ELi8EDF16_DF16_E6NWavesE
	.p2align	2, 0x0
_ZN2ck51BlockwiseGemmXdlops_k0mk1_k0nk1_m0n0m1n1m2m3m4n2_v1ILi256EDF16_DF16_fNS_16TensorDescriptorINS_5TupleIJNS_5EmbedINS2_IJNS_17integral_constantIiLi4EEENS4_IiLi256EEENS4_IiLi8EEEEEENS2_IJNS4_IiLi2056EEES7_NS4_IiLi1EEEEEELb0EEEEEENS2_IJNS_8SequenceIJLi0EEEEEEENS2_IJNSE_IJLi1ELi2ELi3EEEEEEESH_NS4_IlLl8216EEEEENS1_INS2_IJNS3_INS2_IJS5_NS4_IiLi128EEES7_EEENS2_IJNS4_IiLi1032EEES7_SA_EEELb0EEEEEESG_SI_SH_NS4_IlLl4120EEEEELi32ELi32ELi4ELi2ELi8EDF16_DF16_E6NWavesE:
	.long	2                               ; 0x2
	.size	_ZN2ck51BlockwiseGemmXdlops_k0mk1_k0nk1_m0n0m1n1m2m3m4n2_v1ILi256EDF16_DF16_fNS_16TensorDescriptorINS_5TupleIJNS_5EmbedINS2_IJNS_17integral_constantIiLi4EEENS4_IiLi256EEENS4_IiLi8EEEEEENS2_IJNS4_IiLi2056EEES7_NS4_IiLi1EEEEEELb0EEEEEENS2_IJNS_8SequenceIJLi0EEEEEEENS2_IJNSE_IJLi1ELi2ELi3EEEEEEESH_NS4_IlLl8216EEEEENS1_INS2_IJNS3_INS2_IJS5_NS4_IiLi128EEES7_EEENS2_IJNS4_IiLi1032EEES7_SA_EEELb0EEEEEESG_SI_SH_NS4_IlLl4120EEEEELi32ELi32ELi4ELi2ELi8EDF16_DF16_E6NWavesE, 4

	.type	__hip_cuid_4b0f4b8f510b86b6,@object ; @__hip_cuid_4b0f4b8f510b86b6
	.section	.bss,"aw",@nobits
	.globl	__hip_cuid_4b0f4b8f510b86b6
__hip_cuid_4b0f4b8f510b86b6:
	.byte	0                               ; 0x0
	.size	__hip_cuid_4b0f4b8f510b86b6, 1

	.ident	"AMD clang version 22.0.0git (https://github.com/RadeonOpenCompute/llvm-project roc-7.2.4 26084 f58b06dce1f9c15707c5f808fd002e18c2accf7e)"
	.section	".note.GNU-stack","",@progbits
	.addrsig
	.addrsig_sym __hip_cuid_4b0f4b8f510b86b6
	.amdgpu_metadata
---
amdhsa.kernels:
  - .agpr_count:     0
    .args:           []
    .group_segment_fixed_size: 0
    .kernarg_segment_align: 4
    .kernarg_segment_size: 0
    .language:       OpenCL C
    .language_version:
      - 2
      - 0
    .max_flat_workgroup_size: 1024
    .name:           _ZN2ckL12flush_icacheEv
    .private_segment_fixed_size: 0
    .sgpr_count:     6
    .sgpr_spill_count: 0
    .symbol:         _ZN2ckL12flush_icacheEv.kd
    .uniform_work_group_size: 1
    .uses_dynamic_stack: false
    .vgpr_count:     0
    .vgpr_spill_count: 0
    .wavefront_size: 64
  - .agpr_count:     0
    .args:
      - .address_space:  global
        .offset:         0
        .size:           8
        .value_kind:     global_buffer
      - .address_space:  global
        .offset:         8
        .size:           8
        .value_kind:     global_buffer
      - .address_space:  global
        .offset:         16
        .size:           8
        .value_kind:     global_buffer
      - .offset:         24
        .size:           4
        .value_kind:     by_value
      - .offset:         28
        .size:           4
        .value_kind:     by_value
      - .offset:         32
        .size:           4
        .value_kind:     by_value
      - .offset:         36
        .size:           3
        .value_kind:     by_value
      - .offset:         39
        .size:           37
        .value_kind:     by_value
    .group_segment_fixed_size: 24600
    .kernarg_segment_align: 8
    .kernarg_segment_size: 76
    .language:       OpenCL C
    .language_version:
      - 2
      - 0
    .max_flat_workgroup_size: 256
    .name:           _Z10DeviceGemmIDF16_N2ck7wrapper48BlockwisGemmXdlTraits_32x32Xdl_4x2XdlPerWave_8K1ELi8ENS0_5TupleIJNS0_17integral_constantIiLi256EEENS4_IiLi128EEENS4_IiLi32EEEEEENS1_6LayoutINS3_IJNS4_IiLi4EEENS4_IiLi64EEENS4_IiLi1EEEEEENS0_16TensorDescriptorINS3_IJNS0_5EmbedISD_NS3_IJSC_SA_SC_EEELb0EEEEEENS3_IJNS0_8SequenceIJLi0EEEEEEENS3_IJNSJ_IJLi1ELi2ELi3EEEEEEESM_NS4_IlLl256EEEEEEELb0EEvPKvSS_PviiiT2_T3_
    .private_segment_fixed_size: 0
    .sgpr_count:     32
    .sgpr_spill_count: 0
    .symbol:         _Z10DeviceGemmIDF16_N2ck7wrapper48BlockwisGemmXdlTraits_32x32Xdl_4x2XdlPerWave_8K1ELi8ENS0_5TupleIJNS0_17integral_constantIiLi256EEENS4_IiLi128EEENS4_IiLi32EEEEEENS1_6LayoutINS3_IJNS4_IiLi4EEENS4_IiLi64EEENS4_IiLi1EEEEEENS0_16TensorDescriptorINS3_IJNS0_5EmbedISD_NS3_IJSC_SA_SC_EEELb0EEEEEENS3_IJNS0_8SequenceIJLi0EEEEEEENS3_IJNSJ_IJLi1ELi2ELi3EEEEEEESM_NS4_IlLl256EEEEEEELb0EEvPKvSS_PviiiT2_T3_.kd
    .uniform_work_group_size: 1
    .uses_dynamic_stack: false
    .vgpr_count:     178
    .vgpr_spill_count: 0
    .wavefront_size: 64
amdhsa.target:   amdgcn-amd-amdhsa--gfx950
amdhsa.version:
  - 1
  - 2
...

	.end_amdgpu_metadata
